;; amdgpu-corpus repo=ROCm/rocFFT kind=compiled arch=gfx906 opt=O3
	.text
	.amdgcn_target "amdgcn-amd-amdhsa--gfx906"
	.amdhsa_code_object_version 6
	.protected	fft_rtc_back_len112_factors_4_7_4_wgs_448_tpt_28_sp_op_CI_CI_sbrc_aligned ; -- Begin function fft_rtc_back_len112_factors_4_7_4_wgs_448_tpt_28_sp_op_CI_CI_sbrc_aligned
	.globl	fft_rtc_back_len112_factors_4_7_4_wgs_448_tpt_28_sp_op_CI_CI_sbrc_aligned
	.p2align	8
	.type	fft_rtc_back_len112_factors_4_7_4_wgs_448_tpt_28_sp_op_CI_CI_sbrc_aligned,@function
fft_rtc_back_len112_factors_4_7_4_wgs_448_tpt_28_sp_op_CI_CI_sbrc_aligned: ; @fft_rtc_back_len112_factors_4_7_4_wgs_448_tpt_28_sp_op_CI_CI_sbrc_aligned
; %bb.0:
	s_load_dwordx8 s[8:15], s[4:5], 0x0
	s_mov_b32 s30, 0
	s_mov_b64 s[36:37], 2
	s_waitcnt lgkmcnt(0)
	s_load_dword s0, s[12:13], 0x8
	s_load_dwordx4 s[16:19], s[4:5], 0x58
	s_load_dwordx2 s[28:29], s[4:5], 0x20
	s_load_dwordx4 s[24:27], s[14:15], 0x0
	s_mov_b32 s5, s30
	s_waitcnt lgkmcnt(0)
	s_add_i32 s0, s0, -1
	s_lshr_b32 s0, s0, 4
	s_add_i32 s33, s0, 1
	v_cvt_f32_u32_e32 v1, s33
	s_sub_i32 s2, 0, s33
	s_load_dwordx4 s[20:23], s[28:29], 0x0
	v_cmp_gt_u64_e64 s[0:1], s[10:11], 2
	v_rcp_iflag_f32_e32 v1, v1
	v_mul_f32_e32 v1, 0x4f7ffffe, v1
	v_cvt_u32_f32_e32 v1, v1
	v_readfirstlane_b32 s3, v1
	s_mul_i32 s2, s2, s3
	s_mul_hi_u32 s2, s3, s2
	s_add_i32 s3, s3, s2
	s_mul_hi_u32 s2, s6, s3
	s_mul_i32 s3, s2, s33
	s_sub_i32 s3, s6, s3
	s_add_i32 s4, s2, 1
	s_sub_i32 s7, s3, s33
	s_cmp_ge_u32 s3, s33
	s_cselect_b32 s2, s4, s2
	s_cselect_b32 s3, s7, s3
	s_add_i32 s4, s2, 1
	s_cmp_ge_u32 s3, s33
	s_cselect_b32 s7, s4, s2
	s_and_b64 vcc, exec, s[0:1]
	s_mul_i32 s0, s7, s33
	s_sub_i32 s0, s6, s0
	s_lshl_b32 s0, s0, 4
	s_waitcnt lgkmcnt(0)
	s_mul_i32 s1, s21, s0
	s_mul_hi_u32 s3, s20, s0
	s_mul_i32 s4, s0, s26
	s_mul_i32 s2, s20, s0
	s_add_i32 s3, s3, s1
	s_cbranch_vccz .LBB0_9
; %bb.1:
	v_mov_b32_e32 v1, s10
	s_mov_b32 s34, 3
	v_mov_b32_e32 v2, s11
.LBB0_2:                                ; =>This Inner Loop Header: Depth=1
	s_lshl_b64 s[36:37], s[36:37], 3
	s_add_u32 s0, s12, s36
	s_addc_u32 s1, s13, s37
	s_load_dwordx2 s[38:39], s[0:1], 0x0
	s_waitcnt lgkmcnt(0)
	s_mov_b32 s31, s39
	s_cmp_lg_u64 s[30:31], 0
	s_cbranch_scc0 .LBB0_7
; %bb.3:                                ;   in Loop: Header=BB0_2 Depth=1
	v_cvt_f32_u32_e32 v3, s38
	v_cvt_f32_u32_e32 v4, s39
	s_sub_u32 s0, 0, s38
	s_subb_u32 s1, 0, s39
	v_mac_f32_e32 v3, 0x4f800000, v4
	v_rcp_f32_e32 v3, v3
	v_mul_f32_e32 v3, 0x5f7ffffc, v3
	v_mul_f32_e32 v4, 0x2f800000, v3
	v_trunc_f32_e32 v4, v4
	v_mac_f32_e32 v3, 0xcf800000, v4
	v_cvt_u32_f32_e32 v4, v4
	v_cvt_u32_f32_e32 v3, v3
	v_readfirstlane_b32 s23, v4
	v_readfirstlane_b32 s27, v3
	s_mul_i32 s31, s0, s23
	s_mul_hi_u32 s40, s0, s27
	s_mul_i32 s35, s1, s27
	s_add_i32 s31, s40, s31
	s_mul_i32 s41, s0, s27
	s_add_i32 s31, s31, s35
	s_mul_hi_u32 s35, s27, s31
	s_mul_i32 s40, s27, s31
	s_mul_hi_u32 s27, s27, s41
	s_add_u32 s27, s27, s40
	s_addc_u32 s35, 0, s35
	s_mul_hi_u32 s42, s23, s41
	s_mul_i32 s41, s23, s41
	s_add_u32 s27, s27, s41
	s_mul_hi_u32 s40, s23, s31
	s_addc_u32 s27, s35, s42
	s_addc_u32 s35, s40, 0
	s_mul_i32 s31, s23, s31
	s_add_u32 s27, s27, s31
	s_addc_u32 s31, 0, s35
	v_add_co_u32_e32 v3, vcc, s27, v3
	s_cmp_lg_u64 vcc, 0
	s_addc_u32 s23, s23, s31
	v_readfirstlane_b32 s31, v3
	s_mul_i32 s27, s0, s23
	s_mul_hi_u32 s35, s0, s31
	s_add_i32 s27, s35, s27
	s_mul_i32 s1, s1, s31
	s_add_i32 s27, s27, s1
	s_mul_i32 s0, s0, s31
	s_mul_hi_u32 s35, s23, s0
	s_mul_i32 s40, s23, s0
	s_mul_i32 s42, s31, s27
	s_mul_hi_u32 s0, s31, s0
	s_mul_hi_u32 s41, s31, s27
	s_add_u32 s0, s0, s42
	s_addc_u32 s31, 0, s41
	s_add_u32 s0, s0, s40
	s_mul_hi_u32 s1, s23, s27
	s_addc_u32 s0, s31, s35
	s_addc_u32 s1, s1, 0
	s_mul_i32 s27, s23, s27
	s_add_u32 s0, s0, s27
	s_addc_u32 s1, 0, s1
	v_add_co_u32_e32 v3, vcc, s0, v3
	s_cmp_lg_u64 vcc, 0
	s_addc_u32 s0, s23, s1
	v_readfirstlane_b32 s23, v3
	s_mul_hi_u32 s1, s7, s0
	s_mul_i32 s0, s7, s0
	s_mul_hi_u32 s23, s7, s23
	s_add_u32 s0, s23, s0
	s_addc_u32 s23, 0, s1
	s_mul_i32 s0, s39, s23
	s_mul_hi_u32 s1, s38, s23
	s_add_i32 s27, s1, s0
	s_mul_i32 s1, s38, s23
	v_mov_b32_e32 v3, s1
	s_sub_i32 s0, 0, s27
	v_sub_co_u32_e32 v3, vcc, s7, v3
	s_cmp_lg_u64 vcc, 0
	s_subb_u32 s31, s0, s39
	v_subrev_co_u32_e64 v4, s[0:1], s38, v3
	s_cmp_lg_u64 s[0:1], 0
	s_subb_u32 s0, s31, 0
	s_cmp_ge_u32 s0, s39
	v_readfirstlane_b32 s31, v4
	s_cselect_b32 s1, -1, 0
	s_cmp_ge_u32 s31, s38
	s_cselect_b32 s31, -1, 0
	s_cmp_eq_u32 s0, s39
	s_cselect_b32 s0, s31, s1
	s_add_u32 s1, s23, 1
	s_addc_u32 s31, 0, 0
	s_add_u32 s35, s23, 2
	s_addc_u32 s40, 0, 0
	s_cmp_lg_u32 s0, 0
	s_cselect_b32 s0, s35, s1
	s_cselect_b32 s1, s40, s31
	s_cmp_lg_u64 vcc, 0
	s_subb_u32 s27, 0, s27
	s_cmp_ge_u32 s27, s39
	v_readfirstlane_b32 s35, v3
	s_cselect_b32 s31, -1, 0
	s_cmp_ge_u32 s35, s38
	s_cselect_b32 s35, -1, 0
	s_cmp_eq_u32 s27, s39
	s_cselect_b32 s27, s35, s31
	s_cmp_lg_u32 s27, 0
	s_cselect_b32 s1, s1, 0
	s_cselect_b32 s0, s0, s23
	s_cbranch_execnz .LBB0_5
.LBB0_4:                                ;   in Loop: Header=BB0_2 Depth=1
	v_cvt_f32_u32_e32 v3, s38
	s_sub_i32 s0, 0, s38
	v_rcp_iflag_f32_e32 v3, v3
	v_mul_f32_e32 v3, 0x4f7ffffe, v3
	v_cvt_u32_f32_e32 v3, v3
	v_readfirstlane_b32 s1, v3
	s_mul_i32 s0, s0, s1
	s_mul_hi_u32 s0, s1, s0
	s_add_i32 s1, s1, s0
	s_mul_hi_u32 s0, s7, s1
	s_mul_i32 s23, s0, s38
	s_sub_i32 s23, s7, s23
	s_add_i32 s1, s0, 1
	s_sub_i32 s27, s23, s38
	s_cmp_ge_u32 s23, s38
	s_cselect_b32 s0, s1, s0
	s_cselect_b32 s23, s27, s23
	s_add_i32 s1, s0, 1
	s_cmp_ge_u32 s23, s38
	s_cselect_b32 s0, s1, s0
	s_mov_b32 s1, s30
.LBB0_5:                                ;   in Loop: Header=BB0_2 Depth=1
	s_mul_i32 s23, s0, s39
	s_mul_hi_u32 s27, s0, s38
	s_add_i32 s23, s27, s23
	s_mul_i32 s1, s1, s38
	s_add_i32 s23, s23, s1
	s_mul_i32 s1, s0, s38
	s_sub_u32 s1, s7, s1
	s_subb_u32 s7, 0, s23
	s_add_u32 s40, s14, s36
	s_addc_u32 s41, s15, s37
	s_load_dwordx2 s[40:41], s[40:41], 0x0
	s_mov_b32 s35, s30
	v_cmp_ge_u64_e32 vcc, s[34:35], v[1:2]
	s_mul_i32 s33, s33, s38
	s_waitcnt lgkmcnt(0)
	s_mul_i32 s23, s40, s7
	s_mul_hi_u32 s27, s40, s1
	s_add_i32 s23, s27, s23
	s_mul_i32 s27, s41, s1
	s_add_i32 s23, s23, s27
	s_mul_i32 s27, s40, s1
	s_add_u32 s4, s27, s4
	s_addc_u32 s5, s23, s5
	s_add_u32 s36, s28, s36
	s_addc_u32 s37, s29, s37
	s_load_dwordx2 s[36:37], s[36:37], 0x0
	s_waitcnt lgkmcnt(0)
	s_mul_i32 s7, s36, s7
	s_mul_hi_u32 s23, s36, s1
	s_add_i32 s7, s23, s7
	s_mul_i32 s23, s37, s1
	s_add_i32 s7, s7, s23
	s_mul_i32 s1, s36, s1
	s_add_u32 s2, s1, s2
	s_addc_u32 s3, s7, s3
	s_mov_b64 s[36:37], s[34:35]
	s_add_i32 s34, s34, 1
	s_cbranch_vccnz .LBB0_8
; %bb.6:                                ;   in Loop: Header=BB0_2 Depth=1
	s_mov_b32 s7, s0
	s_branch .LBB0_2
.LBB0_7:                                ;   in Loop: Header=BB0_2 Depth=1
                                        ; implicit-def: $sgpr0_sgpr1
	s_branch .LBB0_4
.LBB0_8:
	v_cvt_f32_u32_e32 v1, s33
	s_sub_i32 s0, 0, s33
	v_rcp_iflag_f32_e32 v1, v1
	v_mul_f32_e32 v1, 0x4f7ffffe, v1
	v_cvt_u32_f32_e32 v1, v1
	v_readfirstlane_b32 s1, v1
	s_mul_i32 s0, s0, s1
	s_mul_hi_u32 s0, s1, s0
	s_add_i32 s1, s1, s0
	s_mul_hi_u32 s0, s6, s1
	s_mul_i32 s1, s0, s33
	s_sub_i32 s1, s6, s1
	s_add_i32 s7, s0, 1
	s_sub_i32 s6, s1, s33
	s_cmp_ge_u32 s1, s33
	s_cselect_b32 s0, s7, s0
	s_cselect_b32 s1, s6, s1
	s_add_i32 s6, s0, 1
	s_cmp_ge_u32 s1, s33
	s_cselect_b32 s7, s6, s0
.LBB0_9:
	s_lshl_b64 s[0:1], s[10:11], 3
	s_add_u32 s10, s14, s0
	s_addc_u32 s11, s15, s1
	v_mul_u32_u24_e32 v1, 0x24a, v0
	s_load_dwordx2 s[10:11], s[10:11], 0x0
	v_lshrrev_b32_e32 v15, 16, v1
	v_mul_lo_u16_e32 v1, 0x70, v15
	v_sub_u16_e32 v16, v0, v1
	v_mad_u64_u32 v[1:2], s[12:13], s24, v16, 0
	s_waitcnt lgkmcnt(0)
	s_mul_i32 s6, s11, s7
	s_mul_hi_u32 s11, s10, s7
	s_add_i32 s11, s11, s6
	v_mad_u64_u32 v[2:3], s[12:13], s25, v16, v[2:3]
	s_mul_i32 s10, s10, s7
	s_add_u32 s0, s28, s0
	s_addc_u32 s1, s29, s1
	s_lshl_b64 s[10:11], s[10:11], 3
	s_add_u32 s6, s16, s10
	v_mul_lo_u32 v3, s26, v15
	s_addc_u32 s10, s17, s11
	s_lshl_b64 s[4:5], s[4:5], 3
	s_add_u32 s4, s6, s4
	v_lshlrev_b64 v[1:2], 3, v[1:2]
	s_addc_u32 s5, s10, s5
	v_mov_b32_e32 v4, 0
	v_mov_b32_e32 v5, s5
	v_add_co_u32_e32 v9, vcc, s4, v1
	v_addc_co_u32_e32 v10, vcc, v5, v2, vcc
	v_lshlrev_b64 v[1:2], 3, v[3:4]
	s_lshl_b32 s4, s26, 2
	v_add_u32_e32 v3, s4, v3
	v_add_co_u32_e32 v1, vcc, v9, v1
	v_lshlrev_b64 v[5:6], 3, v[3:4]
	v_addc_co_u32_e32 v2, vcc, v10, v2, vcc
	v_add_u32_e32 v3, s4, v3
	v_add_co_u32_e32 v5, vcc, v9, v5
	v_lshlrev_b64 v[7:8], 3, v[3:4]
	v_addc_co_u32_e32 v6, vcc, v10, v6, vcc
	;; [unrolled: 4-line block ×3, first 2 shown]
	v_add_co_u32_e32 v3, vcc, v9, v3
	v_addc_co_u32_e32 v4, vcc, v10, v4, vcc
	global_load_dwordx2 v[9:10], v[1:2], off
	global_load_dwordx2 v[11:12], v[5:6], off
	;; [unrolled: 1-line block ×4, first 2 shown]
	v_mul_u32_u24_e32 v1, 0x925, v0
	v_mov_b32_e32 v2, 15
	v_mov_b32_e32 v3, 28
	v_and_b32_sdwa v2, v1, v2 dst_sel:DWORD dst_unused:UNUSED_PAD src0_sel:WORD_1 src1_sel:DWORD
	v_mul_lo_u16_sdwa v1, v1, v3 dst_sel:DWORD dst_unused:UNUSED_PAD src0_sel:WORD_1 src1_sel:DWORD
	v_mul_lo_u16_e32 v2, 0x70, v2
	v_sub_u16_e32 v17, v0, v1
	v_mul_u32_u24_e32 v3, 0x380, v15
	v_lshlrev_b32_e32 v18, 3, v2
	v_lshlrev_b32_e32 v1, 3, v17
	;; [unrolled: 1-line block ×3, first 2 shown]
	v_add3_u32 v16, 0, v18, v1
	v_add3_u32 v15, 0, v1, v18
	;; [unrolled: 1-line block ×3, first 2 shown]
	s_load_dwordx2 s[0:1], s[0:1], 0x0
	v_mad_u32_u24 v21, v17, 24, v15
	v_cmp_gt_u16_e32 vcc, 16, v17
	s_waitcnt vmcnt(2)
	ds_write2st64_b64 v1, v[9:10], v[11:12] offset1:7
	s_waitcnt vmcnt(0)
	ds_write2st64_b64 v1, v[13:14], v[19:20] offset0:14 offset1:21
	s_waitcnt lgkmcnt(0)
	s_barrier
	ds_read2_b64 v[1:4], v15 offset0:28 offset1:56
	ds_read_b64 v[5:6], v16
	ds_read_b64 v[7:8], v15 offset:672
	s_waitcnt lgkmcnt(0)
	s_barrier
	v_sub_f32_e32 v3, v5, v3
	v_sub_f32_e32 v4, v6, v4
	;; [unrolled: 1-line block ×4, first 2 shown]
	v_fma_f32 v5, v5, 2.0, -v3
	v_fma_f32 v6, v6, 2.0, -v4
	;; [unrolled: 1-line block ×4, first 2 shown]
	v_add_f32_e32 v11, v3, v8
	v_sub_f32_e32 v12, v4, v7
	v_sub_f32_e32 v1, v5, v1
	;; [unrolled: 1-line block ×3, first 2 shown]
	v_fma_f32 v13, v3, 2.0, -v11
	v_fma_f32 v14, v4, 2.0, -v12
	;; [unrolled: 1-line block ×4, first 2 shown]
	ds_write2_b64 v21, v[1:2], v[11:12] offset0:2 offset1:3
	ds_write2_b64 v21, v[9:10], v[13:14] offset1:1
	s_waitcnt lgkmcnt(0)
	s_barrier
	s_waitcnt lgkmcnt(0)
                                        ; implicit-def: $vgpr8
                                        ; implicit-def: $vgpr4
	s_and_saveexec_b64 s[4:5], vcc
	s_cbranch_execz .LBB0_11
; %bb.10:
	ds_read2_b64 v[1:4], v15 offset0:48 offset1:64
	ds_read2_b64 v[19:22], v15 offset0:16 offset1:32
	ds_read_b64 v[9:10], v16
	ds_read2_b64 v[5:8], v15 offset0:80 offset1:96
	s_waitcnt lgkmcnt(3)
	v_mov_b32_e32 v12, v2
	v_mov_b32_e32 v11, v1
	s_waitcnt lgkmcnt(2)
	v_mov_b32_e32 v2, v22
	v_mov_b32_e32 v1, v21
	;; [unrolled: 1-line block ×4, first 2 shown]
.LBB0_11:
	s_or_b64 exec, exec, s[4:5]
	s_waitcnt lgkmcnt(0)
	s_barrier
	s_and_saveexec_b64 s[4:5], vcc
	s_cbranch_execz .LBB0_13
; %bb.12:
	v_and_b32_e32 v19, 3, v17
	v_mul_u32_u24_e32 v20, 6, v19
	v_lshlrev_b32_e32 v27, 3, v20
	global_load_dwordx4 v[20:23], v27, s[8:9] offset:32
	s_mov_b32 s11, 0x3eae86e6
	s_mov_b32 s6, 0x3f3bfb3b
	;; [unrolled: 1-line block ×3, first 2 shown]
	s_waitcnt vmcnt(0)
	v_mul_f32_e32 v28, v8, v23
	v_mul_f32_e32 v29, v6, v21
	v_mul_f32_e32 v30, v7, v23
	v_mul_f32_e32 v21, v5, v21
	global_load_dwordx4 v[23:26], v27, s[8:9] offset:16
	v_fmac_f32_e32 v28, v7, v22
	v_fmac_f32_e32 v29, v5, v20
	v_fma_f32 v22, v8, v22, -v30
	v_fma_f32 v20, v6, v20, -v21
	global_load_dwordx4 v[5:8], v27, s[8:9]
	s_waitcnt vmcnt(1)
	v_mul_f32_e32 v21, v4, v26
	v_mul_f32_e32 v26, v3, v26
	v_mul_f32_e32 v27, v12, v24
	v_mul_f32_e32 v24, v11, v24
	v_fmac_f32_e32 v21, v3, v25
	s_waitcnt vmcnt(0)
	v_mul_f32_e32 v30, v14, v6
	v_fma_f32 v3, v4, v25, -v26
	v_mul_f32_e32 v4, v2, v8
	v_mul_f32_e32 v6, v13, v6
	v_mul_f32_e32 v8, v1, v8
	v_fmac_f32_e32 v27, v11, v23
	v_fma_f32 v11, v12, v23, -v24
	v_fmac_f32_e32 v30, v13, v5
	v_fma_f32 v5, v14, v5, -v6
	;; [unrolled: 2-line block ×3, first 2 shown]
	v_sub_f32_e32 v2, v30, v28
	v_sub_f32_e32 v6, v21, v27
	;; [unrolled: 1-line block ×3, first 2 shown]
	v_add_f32_e32 v8, v5, v22
	v_add_f32_e32 v12, v11, v3
	;; [unrolled: 1-line block ×6, first 2 shown]
	v_sub_f32_e32 v5, v5, v22
	v_sub_f32_e32 v3, v3, v11
	;; [unrolled: 1-line block ×5, first 2 shown]
	v_add_f32_e32 v6, v6, v7
	v_sub_f32_e32 v22, v8, v12
	v_sub_f32_e32 v23, v12, v13
	v_add_f32_e32 v24, v13, v8
	v_sub_f32_e32 v25, v14, v21
	v_sub_f32_e32 v26, v21, v4
	;; [unrolled: 1-line block ×3, first 2 shown]
	v_add_f32_e32 v13, v4, v14
	v_sub_f32_e32 v14, v4, v14
	v_sub_f32_e32 v4, v5, v3
	;; [unrolled: 1-line block ×4, first 2 shown]
	v_add_f32_e32 v3, v3, v1
	v_sub_f32_e32 v28, v1, v5
	v_add_f32_e32 v12, v12, v24
	v_mul_f32_e32 v24, 0x3d64c772, v23
	v_add_f32_e32 v13, v21, v13
	v_mul_f32_e32 v21, 0x3f08b237, v27
	;; [unrolled: 2-line block ×4, first 2 shown]
	v_add_f32_e32 v2, v10, v12
	v_fma_f32 v30, v11, s11, -v3
	v_fma_f32 v3, v8, s6, -v24
	v_mov_b32_e32 v24, v21
	v_fma_f32 v31, v4, s11, -v5
	v_fmac_f32_e32 v24, 0xbeae86e6, v4
	v_mov_b32_e32 v4, v2
	v_mul_f32_e32 v20, 0x3f08b237, v20
	v_mul_f32_e32 v25, 0x3f4a47b2, v25
	v_add_f32_e32 v1, v9, v13
	v_fmac_f32_e32 v4, 0xbf955555, v12
	v_mul_f32_e32 v22, 0x3f4a47b2, v22
	v_mov_b32_e32 v29, v20
	v_mov_b32_e32 v9, v1
	v_add_f32_e32 v10, v3, v4
	v_mov_b32_e32 v3, v25
	v_fma_f32 v8, v8, s10, -v22
	v_fmac_f32_e32 v29, 0xbeae86e6, v11
	v_fmac_f32_e32 v22, 0x3d64c772, v23
	v_fmac_f32_e32 v9, 0xbf955555, v13
	s_mov_b32 s11, 0xbf5ff5aa
	v_fmac_f32_e32 v3, 0x3d64c772, v26
	v_fmac_f32_e32 v29, 0xbee1c552, v6
	v_add_f32_e32 v13, v22, v4
	v_fma_f32 v12, v7, s11, -v20
	v_mul_f32_e32 v7, 0x3d64c772, v26
	v_add_f32_e32 v20, v3, v9
	v_fmac_f32_e32 v24, 0xbee1c552, v27
	v_add_f32_e32 v11, v8, v4
	v_add_f32_e32 v4, v29, v13
	v_sub_f32_e32 v3, v20, v24
	v_fma_f32 v5, v14, s10, -v25
	v_fma_f32 v7, v14, s6, -v7
	v_sub_f32_e32 v14, v13, v29
	v_add_f32_e32 v13, v24, v20
	v_lshrrev_b32_e32 v20, 2, v17
	v_mul_u32_u24_e32 v20, 28, v20
	v_or_b32_e32 v19, v20, v19
	v_fma_f32 v21, v28, s11, -v21
	v_lshlrev_b32_e32 v19, 3, v19
	v_fmac_f32_e32 v30, 0xbee1c552, v6
	v_fmac_f32_e32 v12, 0xbee1c552, v6
	v_add_f32_e32 v22, v5, v9
	v_fmac_f32_e32 v31, 0xbee1c552, v27
	v_fmac_f32_e32 v21, 0xbee1c552, v27
	v_add_f32_e32 v9, v7, v9
	v_add3_u32 v18, 0, v19, v18
	v_add_f32_e32 v6, v30, v11
	v_sub_f32_e32 v5, v22, v31
	v_sub_f32_e32 v8, v10, v12
	v_add_f32_e32 v7, v21, v9
	v_add_f32_e32 v10, v12, v10
	v_sub_f32_e32 v9, v9, v21
	v_sub_f32_e32 v12, v11, v30
	v_add_f32_e32 v11, v31, v22
	ds_write2_b64 v18, v[1:2], v[13:14] offset1:4
	ds_write2_b64 v18, v[11:12], v[9:10] offset0:8 offset1:12
	ds_write2_b64 v18, v[7:8], v[5:6] offset0:16 offset1:20
	ds_write_b64 v18, v[3:4] offset:192
.LBB0_13:
	s_or_b64 exec, exec, s[4:5]
	v_mul_u32_u24_e32 v1, 3, v17
	v_lshlrev_b32_e32 v5, 3, v1
	s_waitcnt lgkmcnt(0)
	s_barrier
	global_load_dwordx4 v[1:4], v5, s[8:9] offset:192
	global_load_dwordx2 v[9:10], v5, s[8:9] offset:208
	s_mul_i32 s1, s1, s7
	s_mul_hi_u32 s4, s0, s7
	v_and_b32_e32 v22, 15, v0
	s_add_i32 s1, s4, s1
	v_mad_u64_u32 v[18:19], s[4:5], s20, v22, 0
	s_mul_i32 s0, s0, s7
	v_lshrrev_b32_e32 v20, 4, v0
	ds_read2_b64 v[5:8], v15 offset0:28 offset1:56
	ds_read_b64 v[11:12], v16
	ds_read_b64 v[13:14], v15 offset:672
	v_mul_lo_u32 v16, v20, s22
	v_mul_u32_u24_e32 v0, 0x380, v22
	v_lshlrev_b32_e32 v20, 3, v20
	s_lshl_b64 s[0:1], s[0:1], 3
	v_add3_u32 v27, 0, v0, v20
	s_add_u32 s4, s18, s0
	v_mov_b32_e32 v0, v19
	s_addc_u32 s5, s19, s1
	s_lshl_b64 s[0:1], s[2:3], 3
	s_add_u32 s0, s4, s0
	v_mov_b32_e32 v17, 0
	s_addc_u32 s1, s5, s1
	v_lshlrev_b64 v[20:21], 3, v[16:17]
	s_mul_i32 s6, s22, 28
	s_waitcnt vmcnt(0) lgkmcnt(0)
	s_barrier
	v_add_u32_e32 v16, s6, v16
	v_mad_u64_u32 v[22:23], s[2:3], s21, v22, v[0:1]
	v_mov_b32_e32 v0, s1
	v_lshlrev_b64 v[23:24], 3, v[16:17]
	v_mov_b32_e32 v19, v22
	v_lshlrev_b64 v[18:19], 3, v[18:19]
	v_add_u32_e32 v16, s6, v16
	v_add_co_u32_e32 v22, vcc, s0, v18
	v_addc_co_u32_e32 v28, vcc, v0, v19, vcc
	v_add_co_u32_e32 v18, vcc, v22, v20
	v_addc_co_u32_e32 v19, vcc, v28, v21, vcc
	v_mul_f32_e32 v0, v2, v6
	v_mul_f32_e32 v2, v2, v5
	;; [unrolled: 1-line block ×6, first 2 shown]
	v_fmac_f32_e32 v0, v1, v5
	v_fma_f32 v1, v1, v6, -v2
	v_fmac_f32_e32 v20, v3, v7
	v_fma_f32 v2, v3, v8, -v4
	;; [unrolled: 2-line block ×3, first 2 shown]
	v_sub_f32_e32 v4, v11, v20
	v_sub_f32_e32 v5, v12, v2
	;; [unrolled: 1-line block ×4, first 2 shown]
	v_fma_f32 v6, v11, 2.0, -v4
	v_fma_f32 v7, v12, 2.0, -v5
	;; [unrolled: 1-line block ×4, first 2 shown]
	v_add_f32_e32 v0, v4, v3
	v_sub_f32_e32 v1, v5, v2
	v_sub_f32_e32 v2, v6, v8
	;; [unrolled: 1-line block ×3, first 2 shown]
	v_fma_f32 v4, v4, 2.0, -v0
	v_fma_f32 v5, v5, 2.0, -v1
	;; [unrolled: 1-line block ×4, first 2 shown]
	ds_write2_b64 v15, v[2:3], v[0:1] offset0:56 offset1:84
	ds_write2_b64 v15, v[6:7], v[4:5] offset1:28
	s_waitcnt lgkmcnt(0)
	s_barrier
	ds_read2_b64 v[0:3], v27 offset1:28
	ds_read2_b64 v[4:7], v27 offset0:56 offset1:84
	v_lshlrev_b64 v[25:26], 3, v[16:17]
	v_add_co_u32_e32 v8, vcc, v22, v23
	v_addc_co_u32_e32 v9, vcc, v28, v24, vcc
	s_waitcnt lgkmcnt(1)
	global_store_dwordx2 v[18:19], v[0:1], off
	global_store_dwordx2 v[8:9], v[2:3], off
	v_add_co_u32_e32 v0, vcc, v22, v25
	v_addc_co_u32_e32 v1, vcc, v28, v26, vcc
	v_add_u32_e32 v16, s6, v16
	s_waitcnt lgkmcnt(0)
	global_store_dwordx2 v[0:1], v[4:5], off
	v_lshlrev_b64 v[0:1], 3, v[16:17]
	v_add_co_u32_e32 v0, vcc, v22, v0
	v_addc_co_u32_e32 v1, vcc, v28, v1, vcc
	global_store_dwordx2 v[0:1], v[6:7], off
	s_endpgm
	.section	.rodata,"a",@progbits
	.p2align	6, 0x0
	.amdhsa_kernel fft_rtc_back_len112_factors_4_7_4_wgs_448_tpt_28_sp_op_CI_CI_sbrc_aligned
		.amdhsa_group_segment_fixed_size 0
		.amdhsa_private_segment_fixed_size 0
		.amdhsa_kernarg_size 104
		.amdhsa_user_sgpr_count 6
		.amdhsa_user_sgpr_private_segment_buffer 1
		.amdhsa_user_sgpr_dispatch_ptr 0
		.amdhsa_user_sgpr_queue_ptr 0
		.amdhsa_user_sgpr_kernarg_segment_ptr 1
		.amdhsa_user_sgpr_dispatch_id 0
		.amdhsa_user_sgpr_flat_scratch_init 0
		.amdhsa_user_sgpr_private_segment_size 0
		.amdhsa_uses_dynamic_stack 0
		.amdhsa_system_sgpr_private_segment_wavefront_offset 0
		.amdhsa_system_sgpr_workgroup_id_x 1
		.amdhsa_system_sgpr_workgroup_id_y 0
		.amdhsa_system_sgpr_workgroup_id_z 0
		.amdhsa_system_sgpr_workgroup_info 0
		.amdhsa_system_vgpr_workitem_id 0
		.amdhsa_next_free_vgpr 32
		.amdhsa_next_free_sgpr 43
		.amdhsa_reserve_vcc 1
		.amdhsa_reserve_flat_scratch 0
		.amdhsa_float_round_mode_32 0
		.amdhsa_float_round_mode_16_64 0
		.amdhsa_float_denorm_mode_32 3
		.amdhsa_float_denorm_mode_16_64 3
		.amdhsa_dx10_clamp 1
		.amdhsa_ieee_mode 1
		.amdhsa_fp16_overflow 0
		.amdhsa_exception_fp_ieee_invalid_op 0
		.amdhsa_exception_fp_denorm_src 0
		.amdhsa_exception_fp_ieee_div_zero 0
		.amdhsa_exception_fp_ieee_overflow 0
		.amdhsa_exception_fp_ieee_underflow 0
		.amdhsa_exception_fp_ieee_inexact 0
		.amdhsa_exception_int_div_zero 0
	.end_amdhsa_kernel
	.text
.Lfunc_end0:
	.size	fft_rtc_back_len112_factors_4_7_4_wgs_448_tpt_28_sp_op_CI_CI_sbrc_aligned, .Lfunc_end0-fft_rtc_back_len112_factors_4_7_4_wgs_448_tpt_28_sp_op_CI_CI_sbrc_aligned
                                        ; -- End function
	.section	.AMDGPU.csdata,"",@progbits
; Kernel info:
; codeLenInByte = 2916
; NumSgprs: 47
; NumVgprs: 32
; ScratchSize: 0
; MemoryBound: 0
; FloatMode: 240
; IeeeMode: 1
; LDSByteSize: 0 bytes/workgroup (compile time only)
; SGPRBlocks: 5
; VGPRBlocks: 7
; NumSGPRsForWavesPerEU: 47
; NumVGPRsForWavesPerEU: 32
; Occupancy: 8
; WaveLimiterHint : 1
; COMPUTE_PGM_RSRC2:SCRATCH_EN: 0
; COMPUTE_PGM_RSRC2:USER_SGPR: 6
; COMPUTE_PGM_RSRC2:TRAP_HANDLER: 0
; COMPUTE_PGM_RSRC2:TGID_X_EN: 1
; COMPUTE_PGM_RSRC2:TGID_Y_EN: 0
; COMPUTE_PGM_RSRC2:TGID_Z_EN: 0
; COMPUTE_PGM_RSRC2:TIDIG_COMP_CNT: 0
	.type	__hip_cuid_55355dab28f0fdbf,@object ; @__hip_cuid_55355dab28f0fdbf
	.section	.bss,"aw",@nobits
	.globl	__hip_cuid_55355dab28f0fdbf
__hip_cuid_55355dab28f0fdbf:
	.byte	0                               ; 0x0
	.size	__hip_cuid_55355dab28f0fdbf, 1

	.ident	"AMD clang version 19.0.0git (https://github.com/RadeonOpenCompute/llvm-project roc-6.4.0 25133 c7fe45cf4b819c5991fe208aaa96edf142730f1d)"
	.section	".note.GNU-stack","",@progbits
	.addrsig
	.addrsig_sym __hip_cuid_55355dab28f0fdbf
	.amdgpu_metadata
---
amdhsa.kernels:
  - .args:
      - .actual_access:  read_only
        .address_space:  global
        .offset:         0
        .size:           8
        .value_kind:     global_buffer
      - .offset:         8
        .size:           8
        .value_kind:     by_value
      - .actual_access:  read_only
        .address_space:  global
        .offset:         16
        .size:           8
        .value_kind:     global_buffer
      - .actual_access:  read_only
        .address_space:  global
        .offset:         24
        .size:           8
        .value_kind:     global_buffer
      - .actual_access:  read_only
        .address_space:  global
        .offset:         32
        .size:           8
        .value_kind:     global_buffer
      - .offset:         40
        .size:           8
        .value_kind:     by_value
      - .actual_access:  read_only
        .address_space:  global
        .offset:         48
        .size:           8
        .value_kind:     global_buffer
      - .actual_access:  read_only
        .address_space:  global
        .offset:         56
        .size:           8
        .value_kind:     global_buffer
      - .offset:         64
        .size:           4
        .value_kind:     by_value
      - .actual_access:  read_only
        .address_space:  global
        .offset:         72
        .size:           8
        .value_kind:     global_buffer
      - .actual_access:  read_only
        .address_space:  global
        .offset:         80
        .size:           8
        .value_kind:     global_buffer
      - .actual_access:  read_only
        .address_space:  global
        .offset:         88
        .size:           8
        .value_kind:     global_buffer
      - .actual_access:  write_only
        .address_space:  global
        .offset:         96
        .size:           8
        .value_kind:     global_buffer
    .group_segment_fixed_size: 0
    .kernarg_segment_align: 8
    .kernarg_segment_size: 104
    .language:       OpenCL C
    .language_version:
      - 2
      - 0
    .max_flat_workgroup_size: 448
    .name:           fft_rtc_back_len112_factors_4_7_4_wgs_448_tpt_28_sp_op_CI_CI_sbrc_aligned
    .private_segment_fixed_size: 0
    .sgpr_count:     47
    .sgpr_spill_count: 0
    .symbol:         fft_rtc_back_len112_factors_4_7_4_wgs_448_tpt_28_sp_op_CI_CI_sbrc_aligned.kd
    .uniform_work_group_size: 1
    .uses_dynamic_stack: false
    .vgpr_count:     32
    .vgpr_spill_count: 0
    .wavefront_size: 64
amdhsa.target:   amdgcn-amd-amdhsa--gfx906
amdhsa.version:
  - 1
  - 2
...

	.end_amdgpu_metadata
